;; amdgpu-corpus repo=ROCm/rocFFT kind=compiled arch=gfx950 opt=O3
	.text
	.amdgcn_target "amdgcn-amd-amdhsa--gfx950"
	.amdhsa_code_object_version 6
	.protected	bluestein_single_back_len1120_dim1_sp_op_CI_CI ; -- Begin function bluestein_single_back_len1120_dim1_sp_op_CI_CI
	.globl	bluestein_single_back_len1120_dim1_sp_op_CI_CI
	.p2align	8
	.type	bluestein_single_back_len1120_dim1_sp_op_CI_CI,@function
bluestein_single_back_len1120_dim1_sp_op_CI_CI: ; @bluestein_single_back_len1120_dim1_sp_op_CI_CI
; %bb.0:
	s_load_dwordx4 s[8:11], s[0:1], 0x28
	v_mul_u32_u24_e32 v1, 0x125, v0
	v_mov_b32_e32 v35, 0
	v_add_u32_sdwa v36, s2, v1 dst_sel:DWORD dst_unused:UNUSED_PAD src0_sel:DWORD src1_sel:WORD_1
	v_mov_b32_e32 v37, v35
	s_waitcnt lgkmcnt(0)
	v_cmp_gt_u64_e32 vcc, s[8:9], v[36:37]
	s_and_saveexec_b64 s[2:3], vcc
	s_cbranch_execz .LBB0_57
; %bb.1:
	s_load_dwordx4 s[4:7], s[0:1], 0x18
	s_load_dwordx2 s[14:15], s[0:1], 0x0
	v_mov_b32_e32 v2, s10
	v_mov_b32_e32 v3, s11
	s_movk_i32 s2, 0xe0
	s_waitcnt lgkmcnt(0)
	s_load_dwordx4 s[8:11], s[4:5], 0x0
	v_mul_lo_u16_sdwa v1, v1, s2 dst_sel:DWORD dst_unused:UNUSED_PAD src0_sel:WORD_1 src1_sel:DWORD
	v_sub_u16_e32 v34, v0, v1
	v_lshlrev_b32_e32 v30, 3, v34
	v_mov_b32_e32 v31, v35
	s_waitcnt lgkmcnt(0)
	v_mad_u64_u32 v[0:1], s[2:3], s10, v36, 0
	v_mov_b32_e32 v4, v1
	v_mad_u64_u32 v[4:5], s[2:3], s11, v36, v[4:5]
	v_mov_b32_e32 v1, v4
	v_mad_u64_u32 v[4:5], s[2:3], s8, v34, 0
	v_mov_b32_e32 v6, v5
	v_mad_u64_u32 v[6:7], s[2:3], s9, v34, v[6:7]
	v_lshl_add_u64 v[32:33], s[14:15], 0, v[30:31]
	s_mul_i32 s2, s9, 0x230
	s_mul_hi_u32 s3, s8, 0x230
	s_movk_i32 s10, 0x1000
	v_mov_b32_e32 v5, v6
	v_lshl_add_u64 v[0:1], v[0:1], 3, v[2:3]
	s_add_i32 s3, s3, s2
	s_mul_i32 s2, s8, 0x230
	v_add_co_u32_e32 v8, vcc, s10, v32
	s_mul_hi_u32 s10, s8, 0xfffffeb0
	v_lshl_add_u64 v[0:1], v[4:5], 3, v[0:1]
	s_lshl_b64 s[4:5], s[2:3], 3
	v_addc_co_u32_e32 v9, vcc, 0, v33, vcc
	s_mulk_i32 s9, 0xfeb0
	s_sub_i32 s10, s10, s8
	v_lshl_add_u64 v[2:3], v[0:1], 0, s[4:5]
	global_load_dwordx2 v[4:5], v[0:1], off
	global_load_dwordx2 v[6:7], v[2:3], off
	global_load_dwordx2 v[42:43], v[8:9], off offset:384
	global_load_dwordx2 v[44:45], v30, s[14:15]
	s_add_i32 s17, s10, s9
	s_mul_i32 s16, s8, 0xfffffeb0
	v_lshl_add_u64 v[0:1], s[16:17], 3, v[2:3]
	global_load_dwordx2 v[2:3], v[0:1], off
	global_load_dwordx2 v[40:41], v30, s[14:15] offset:1792
	v_lshl_add_u64 v[0:1], v[0:1], 0, s[4:5]
	global_load_dwordx2 v[38:39], v[8:9], off offset:2176
	global_load_dwordx2 v[10:11], v[0:1], off
	s_load_dwordx2 s[12:13], s[0:1], 0x38
	s_load_dwordx4 s[8:11], s[6:7], 0x0
	s_movk_i32 s4, 0x70
	v_cmp_gt_u16_e64 s[4:5], s4, v34
	s_waitcnt vmcnt(4)
	v_mul_f32_e32 v8, v5, v45
	v_mul_f32_e32 v9, v4, v45
	v_fmac_f32_e32 v8, v4, v44
	v_fma_f32 v9, v5, v44, -v9
	v_mul_f32_e32 v4, v7, v43
	v_mul_f32_e32 v5, v6, v43
	v_fmac_f32_e32 v4, v6, v42
	v_fma_f32 v5, v7, v42, -v5
	s_waitcnt vmcnt(2)
	v_mul_f32_e32 v6, v3, v41
	v_mul_f32_e32 v7, v2, v41
	v_fmac_f32_e32 v6, v2, v40
	v_fma_f32 v7, v3, v40, -v7
	s_waitcnt vmcnt(0)
	v_mul_f32_e32 v2, v11, v39
	v_mul_f32_e32 v3, v10, v39
	v_fmac_f32_e32 v2, v10, v38
	v_fma_f32 v3, v11, v38, -v3
	ds_write_b64 v30, v[4:5] offset:4480
	ds_write2_b64 v30, v[8:9], v[6:7] offset1:224
	ds_write_b64 v30, v[2:3] offset:6272
	s_and_saveexec_b64 s[6:7], s[4:5]
	s_cbranch_execz .LBB0_3
; %bb.2:
	v_lshl_add_u64 v[0:1], s[16:17], 3, v[0:1]
	v_add_co_u32_e32 v6, vcc, 0x1000, v32
	global_load_dwordx2 v[2:3], v[0:1], off
	global_load_dwordx2 v[4:5], v[32:33], off offset:3584
	v_lshl_add_u64 v[0:1], s[2:3], 3, v[0:1]
	v_addc_co_u32_e32 v7, vcc, 0, v33, vcc
	global_load_dwordx2 v[0:1], v[0:1], off
	s_waitcnt vmcnt(1)
	v_mul_f32_e32 v8, v3, v5
	global_load_dwordx2 v[6:7], v[6:7], off offset:3968
	v_mul_f32_e32 v5, v2, v5
	v_fmac_f32_e32 v8, v2, v4
	v_fma_f32 v9, v3, v4, -v5
	ds_write_b64 v30, v[8:9] offset:3584
	s_waitcnt vmcnt(0)
	v_mul_f32_e32 v2, v1, v7
	v_mul_f32_e32 v3, v0, v7
	v_fmac_f32_e32 v2, v0, v6
	v_fma_f32 v3, v1, v6, -v3
	ds_write_b64 v30, v[2:3] offset:8064
.LBB0_3:
	s_or_b64 exec, exec, s[6:7]
	v_add_u32_e32 v0, 0x1100, v30
	s_waitcnt lgkmcnt(0)
	s_barrier
	ds_read2_b64 v[4:7], v30 offset1:224
	ds_read2_b64 v[0:3], v0 offset0:16 offset1:240
                                        ; implicit-def: $vgpr8
                                        ; implicit-def: $vgpr10
	s_and_saveexec_b64 s[2:3], s[4:5]
	s_cbranch_execz .LBB0_5
; %bb.4:
	ds_read_b64 v[8:9], v30 offset:3584
	ds_read_b64 v[10:11], v30 offset:8064
.LBB0_5:
	s_or_b64 exec, exec, s[2:3]
	s_load_dwordx2 s[0:1], s[0:1], 0x8
	s_mov_b64 s[2:3], 0x1c0
	s_waitcnt lgkmcnt(0)
	v_pk_add_f32 v[18:19], v[4:5], v[0:1] neg_lo:[0,1] neg_hi:[0,1]
	v_lshlrev_b32_e32 v14, 1, v34
	v_lshl_add_u64 v[12:13], v[34:35], 0, s[2:3]
	v_pk_add_f32 v[20:21], v[6:7], v[2:3] neg_lo:[0,1] neg_hi:[0,1]
	v_pk_add_f32 v[2:3], v[8:9], v[10:11] neg_lo:[0,1] neg_hi:[0,1]
	v_lshlrev_b32_e32 v65, 4, v34
	v_pk_fma_f32 v[16:17], v[4:5], 2.0, v[18:19] op_sel_hi:[1,0,1] neg_lo:[0,0,1] neg_hi:[0,0,1]
	v_pk_fma_f32 v[0:1], v[8:9], 2.0, v[2:3] op_sel_hi:[1,0,1] neg_lo:[0,0,1] neg_hi:[0,0,1]
	s_barrier
	ds_write_b128 v65, v[16:19]
	v_add_u32_e32 v76, 0x1c0, v14
	v_lshlrev_b32_e32 v4, 3, v14
	v_pk_fma_f32 v[18:19], v[6:7], 2.0, v[20:21] op_sel_hi:[1,0,1] neg_lo:[0,0,1] neg_hi:[0,0,1]
	v_lshlrev_b32_e32 v64, 4, v12
	ds_write_b128 v4, v[18:21] offset:3584
	s_and_saveexec_b64 s[2:3], s[4:5]
	s_cbranch_execz .LBB0_7
; %bb.6:
	ds_write_b128 v64, v[0:3]
.LBB0_7:
	s_or_b64 exec, exec, s[2:3]
	v_add_u32_e32 v8, 0x1100, v30
	s_waitcnt lgkmcnt(0)
	s_barrier
	ds_read2_b64 v[4:7], v30 offset1:224
	ds_read2_b64 v[8:11], v8 offset0:16 offset1:240
	s_and_saveexec_b64 s[2:3], s[4:5]
	s_cbranch_execz .LBB0_9
; %bb.8:
	ds_read_b64 v[0:1], v30 offset:3584
	ds_read_b64 v[2:3], v30 offset:8064
.LBB0_9:
	s_or_b64 exec, exec, s[2:3]
	v_and_b32_e32 v35, 1, v34
	v_lshlrev_b32_e32 v13, 3, v35
	global_load_dwordx2 v[46:47], v13, s[0:1]
	s_movk_i32 s2, 0x1fc
	v_and_or_b32 v13, v14, s2, v35
	v_lshlrev_b32_e32 v69, 3, v13
	s_movk_i32 s3, 0x3fc
	v_and_or_b32 v15, v76, s3, v35
	v_lshlrev_b32_e32 v66, 3, v15
	v_lshlrev_b32_e32 v31, 1, v12
	s_waitcnt lgkmcnt(0)
	s_barrier
	s_waitcnt vmcnt(0)
	v_mul_f32_e32 v13, v3, v47
	v_mul_f32_e32 v17, v2, v47
	v_pk_mul_f32 v[18:19], v[8:9], v[46:47] op_sel:[0,1]
	v_pk_mul_f32 v[20:21], v[10:11], v[46:47] op_sel:[0,1]
	v_fma_f32 v16, v2, v46, -v13
	v_fmac_f32_e32 v17, v3, v46
	v_pk_fma_f32 v[2:3], v[8:9], v[46:47], v[18:19] op_sel:[0,0,1] op_sel_hi:[1,1,0] neg_lo:[0,0,1] neg_hi:[0,0,1]
	v_pk_fma_f32 v[8:9], v[8:9], v[46:47], v[18:19] op_sel:[0,0,1] op_sel_hi:[1,0,0]
	v_pk_fma_f32 v[18:19], v[10:11], v[46:47], v[20:21] op_sel:[0,0,1] op_sel_hi:[1,1,0] neg_lo:[0,0,1] neg_hi:[0,0,1]
	v_pk_fma_f32 v[20:21], v[10:11], v[46:47], v[20:21] op_sel:[0,0,1] op_sel_hi:[1,0,0]
	v_pk_add_f32 v[10:11], v[0:1], v[16:17] neg_lo:[0,1] neg_hi:[0,1]
	v_mov_b32_e32 v3, v9
	v_mov_b32_e32 v19, v21
	v_pk_fma_f32 v[8:9], v[0:1], 2.0, v[10:11] op_sel_hi:[1,0,1] neg_lo:[0,0,1] neg_hi:[0,0,1]
	v_pk_add_f32 v[0:1], v[4:5], v[2:3] neg_lo:[0,1] neg_hi:[0,1]
	v_pk_add_f32 v[2:3], v[6:7], v[18:19] neg_lo:[0,1] neg_hi:[0,1]
	v_pk_fma_f32 v[4:5], v[4:5], 2.0, v[0:1] op_sel_hi:[1,0,1] neg_lo:[0,0,1] neg_hi:[0,0,1]
	v_pk_fma_f32 v[6:7], v[6:7], 2.0, v[2:3] op_sel_hi:[1,0,1] neg_lo:[0,0,1] neg_hi:[0,0,1]
	ds_write2_b64 v69, v[4:5], v[0:1] offset1:2
	ds_write2_b64 v66, v[6:7], v[2:3] offset1:2
	s_and_saveexec_b64 s[2:3], s[4:5]
	s_cbranch_execz .LBB0_11
; %bb.10:
	s_movk_i32 s6, 0x7fc
	v_and_or_b32 v0, v31, s6, v35
	v_lshlrev_b32_e32 v0, 3, v0
	ds_write2_b64 v0, v[8:9], v[10:11] offset1:2
.LBB0_11:
	s_or_b64 exec, exec, s[2:3]
	v_add_u32_e32 v4, 0x1100, v30
	s_waitcnt lgkmcnt(0)
	s_barrier
	ds_read2_b64 v[0:3], v30 offset1:224
	ds_read2_b64 v[4:7], v4 offset0:16 offset1:240
	s_and_saveexec_b64 s[2:3], s[4:5]
	s_cbranch_execz .LBB0_13
; %bb.12:
	ds_read_b64 v[8:9], v30 offset:3584
	ds_read_b64 v[10:11], v30 offset:8064
.LBB0_13:
	s_or_b64 exec, exec, s[2:3]
	v_and_b32_e32 v37, 3, v34
	v_lshlrev_b32_e32 v12, 3, v37
	global_load_dwordx2 v[48:49], v12, s[0:1] offset:16
	s_movk_i32 s2, 0x1f8
	s_movk_i32 s3, 0x3f8
	v_and_or_b32 v12, v14, s2, v37
	v_and_or_b32 v13, v76, s3, v37
	v_lshlrev_b32_e32 v71, 3, v12
	v_lshlrev_b32_e32 v70, 3, v13
	s_waitcnt lgkmcnt(0)
	s_barrier
	s_waitcnt vmcnt(0)
	v_pk_mul_f32 v[12:13], v[10:11], v[48:49] op_sel:[1,0]
	v_pk_mul_f32 v[16:17], v[4:5], v[48:49] op_sel:[0,1]
	v_pk_mul_f32 v[18:19], v[6:7], v[48:49] op_sel:[0,1]
	v_pk_fma_f32 v[20:21], v[10:11], v[48:49], v[12:13] op_sel:[0,0,1] op_sel_hi:[1,1,0] neg_lo:[0,0,1] neg_hi:[0,0,1]
	v_pk_fma_f32 v[10:11], v[10:11], v[48:49], v[12:13] op_sel:[0,0,1] op_sel_hi:[0,1,0]
	v_pk_fma_f32 v[12:13], v[4:5], v[48:49], v[16:17] op_sel:[0,0,1] op_sel_hi:[1,1,0] neg_lo:[0,0,1] neg_hi:[0,0,1]
	v_pk_fma_f32 v[4:5], v[4:5], v[48:49], v[16:17] op_sel:[0,0,1] op_sel_hi:[1,0,0]
	v_pk_fma_f32 v[16:17], v[6:7], v[48:49], v[18:19] op_sel:[0,0,1] op_sel_hi:[1,1,0] neg_lo:[0,0,1] neg_hi:[0,0,1]
	v_pk_fma_f32 v[6:7], v[6:7], v[48:49], v[18:19] op_sel:[0,0,1] op_sel_hi:[1,0,0]
	v_mov_b32_e32 v21, v11
	v_mov_b32_e32 v13, v5
	v_mov_b32_e32 v17, v7
	v_pk_add_f32 v[10:11], v[8:9], v[20:21] neg_lo:[0,1] neg_hi:[0,1]
	v_pk_add_f32 v[4:5], v[0:1], v[12:13] neg_lo:[0,1] neg_hi:[0,1]
	v_pk_add_f32 v[6:7], v[2:3], v[16:17] neg_lo:[0,1] neg_hi:[0,1]
	v_pk_fma_f32 v[8:9], v[8:9], 2.0, v[10:11] op_sel_hi:[1,0,1] neg_lo:[0,0,1] neg_hi:[0,0,1]
	v_pk_fma_f32 v[0:1], v[0:1], 2.0, v[4:5] op_sel_hi:[1,0,1] neg_lo:[0,0,1] neg_hi:[0,0,1]
	v_pk_fma_f32 v[2:3], v[2:3], 2.0, v[6:7] op_sel_hi:[1,0,1] neg_lo:[0,0,1] neg_hi:[0,0,1]
	ds_write2_b64 v71, v[0:1], v[4:5] offset1:4
	ds_write2_b64 v70, v[2:3], v[6:7] offset1:4
	s_and_saveexec_b64 s[2:3], s[4:5]
	s_cbranch_execz .LBB0_15
; %bb.14:
	s_movk_i32 s6, 0x7f8
	v_and_or_b32 v0, v31, s6, v37
	v_lshlrev_b32_e32 v0, 3, v0
	ds_write2_b64 v0, v[8:9], v[10:11] offset1:4
.LBB0_15:
	s_or_b64 exec, exec, s[2:3]
	v_add_u32_e32 v4, 0x1100, v30
	s_waitcnt lgkmcnt(0)
	s_barrier
	ds_read2_b64 v[0:3], v30 offset1:224
	ds_read2_b64 v[4:7], v4 offset0:16 offset1:240
	s_and_saveexec_b64 s[2:3], s[4:5]
	s_cbranch_execz .LBB0_17
; %bb.16:
	ds_read_b64 v[8:9], v30 offset:3584
	ds_read_b64 v[10:11], v30 offset:8064
.LBB0_17:
	s_or_b64 exec, exec, s[2:3]
	v_and_b32_e32 v67, 7, v34
	v_lshlrev_b32_e32 v12, 3, v67
	global_load_dwordx2 v[52:53], v12, s[0:1] offset:48
	s_movk_i32 s2, 0x1f0
	s_movk_i32 s3, 0x3f0
	v_and_or_b32 v12, v14, s2, v67
	v_and_or_b32 v13, v76, s3, v67
	v_lshlrev_b32_e32 v75, 3, v12
	v_lshlrev_b32_e32 v73, 3, v13
	s_waitcnt lgkmcnt(0)
	s_barrier
	s_waitcnt vmcnt(0)
	v_pk_mul_f32 v[12:13], v[10:11], v[52:53] op_sel:[1,0]
	v_pk_mul_f32 v[16:17], v[4:5], v[52:53] op_sel:[0,1]
	v_pk_mul_f32 v[18:19], v[6:7], v[52:53] op_sel:[0,1]
	v_pk_fma_f32 v[20:21], v[10:11], v[52:53], v[12:13] op_sel:[0,0,1] op_sel_hi:[1,1,0] neg_lo:[0,0,1] neg_hi:[0,0,1]
	v_pk_fma_f32 v[10:11], v[10:11], v[52:53], v[12:13] op_sel:[0,0,1] op_sel_hi:[0,1,0]
	v_pk_fma_f32 v[12:13], v[4:5], v[52:53], v[16:17] op_sel:[0,0,1] op_sel_hi:[1,1,0] neg_lo:[0,0,1] neg_hi:[0,0,1]
	v_pk_fma_f32 v[4:5], v[4:5], v[52:53], v[16:17] op_sel:[0,0,1] op_sel_hi:[1,0,0]
	v_pk_fma_f32 v[16:17], v[6:7], v[52:53], v[18:19] op_sel:[0,0,1] op_sel_hi:[1,1,0] neg_lo:[0,0,1] neg_hi:[0,0,1]
	v_pk_fma_f32 v[6:7], v[6:7], v[52:53], v[18:19] op_sel:[0,0,1] op_sel_hi:[1,0,0]
	v_mov_b32_e32 v21, v11
	v_mov_b32_e32 v13, v5
	v_mov_b32_e32 v17, v7
	v_pk_add_f32 v[10:11], v[8:9], v[20:21] neg_lo:[0,1] neg_hi:[0,1]
	v_pk_add_f32 v[4:5], v[0:1], v[12:13] neg_lo:[0,1] neg_hi:[0,1]
	v_pk_add_f32 v[6:7], v[2:3], v[16:17] neg_lo:[0,1] neg_hi:[0,1]
	v_pk_fma_f32 v[8:9], v[8:9], 2.0, v[10:11] op_sel_hi:[1,0,1] neg_lo:[0,0,1] neg_hi:[0,0,1]
	;; [unrolled: 53-line block ×3, first 2 shown]
	v_pk_fma_f32 v[2:3], v[2:3], 2.0, v[6:7] op_sel_hi:[1,0,1] neg_lo:[0,0,1] neg_hi:[0,0,1]
	ds_write2_b64 v74, v[0:1], v[4:5] offset1:16
	ds_write2_b64 v72, v[2:3], v[6:7] offset1:16
	s_and_saveexec_b64 s[2:3], s[4:5]
	s_cbranch_execz .LBB0_23
; %bb.22:
	s_movk_i32 s6, 0x7e0
	v_and_or_b32 v0, v31, s6, v68
	v_lshlrev_b32_e32 v2, 3, v0
	v_pk_fma_f32 v[0:1], v[8:9], 2.0, v[20:21] op_sel_hi:[1,0,1] neg_lo:[0,0,1] neg_hi:[0,0,1]
	ds_write2_b64 v2, v[0:1], v[20:21] offset1:16
.LBB0_23:
	s_or_b64 exec, exec, s[2:3]
	v_and_b32_e32 v18, 31, v34
	v_lshlrev_b32_e32 v8, 5, v18
	s_waitcnt lgkmcnt(0)
	s_barrier
	global_load_dwordx4 v[4:7], v8, s[0:1] offset:240
	global_load_dwordx4 v[0:3], v8, s[0:1] offset:256
	v_add_u32_e32 v12, 0xe00, v30
	ds_read2_b64 v[8:11], v30 offset1:224
	ds_read2_b64 v[12:15], v12 offset1:224
	ds_read_b64 v[16:17], v30 offset:7168
	v_lshrrev_b32_e32 v19, 5, v34
	v_mul_u32_u24_e32 v19, 0xa0, v19
	v_or_b32_e32 v18, v19, v18
	v_lshlrev_b32_e32 v77, 3, v18
	s_mov_b32 s6, 0x3f737871
	s_mov_b32 s7, 0x3f167918
	;; [unrolled: 1-line block ×6, first 2 shown]
	s_movk_i32 s3, 0xa0
	s_waitcnt lgkmcnt(0)
	s_barrier
	s_waitcnt vmcnt(1)
	v_pk_mul_f32 v[18:19], v[10:11], v[4:5] op_sel:[0,1]
	v_mov_b32_e32 v22, v7
	s_waitcnt vmcnt(0)
	v_pk_mul_f32 v[24:25], v[14:15], v[0:1] op_sel:[0,1]
	v_mov_b32_e32 v26, v3
	v_pk_fma_f32 v[28:29], v[10:11], v[4:5], v[18:19] op_sel:[0,0,1] op_sel_hi:[1,0,0]
	v_pk_fma_f32 v[10:11], v[10:11], v[4:5], v[18:19] op_sel:[0,0,1] op_sel_hi:[1,0,0] neg_lo:[0,0,1] neg_hi:[0,0,1]
	v_pk_mul_f32 v[18:19], v[12:13], v[22:23] op_sel_hi:[1,0]
	v_pk_fma_f32 v[22:23], v[14:15], v[0:1], v[24:25] op_sel:[0,0,1] op_sel_hi:[1,0,0]
	v_pk_fma_f32 v[14:15], v[14:15], v[0:1], v[24:25] op_sel:[0,0,1] op_sel_hi:[1,0,0] neg_lo:[0,0,1] neg_hi:[0,0,1]
	v_pk_mul_f32 v[24:25], v[16:17], v[26:27] op_sel_hi:[1,0]
	v_mov_b32_e32 v11, v29
	v_pk_fma_f32 v[26:27], v[12:13], v[6:7], v[18:19] op_sel:[0,0,1] op_sel_hi:[1,0,0]
	v_pk_fma_f32 v[12:13], v[12:13], v[6:7], v[18:19] op_sel:[0,0,1] op_sel_hi:[1,0,0] neg_lo:[0,0,1] neg_hi:[0,0,1]
	v_pk_fma_f32 v[18:19], v[16:17], v[2:3], v[24:25] op_sel:[0,0,1] op_sel_hi:[1,0,0]
	v_pk_fma_f32 v[16:17], v[16:17], v[2:3], v[24:25] op_sel:[0,0,1] op_sel_hi:[1,0,0] neg_lo:[0,0,1] neg_hi:[0,0,1]
	v_mov_b32_e32 v15, v23
	v_mov_b32_e32 v25, v10
	v_mov_b32_e32 v54, v29
	v_mov_b32_e32 v56, v23
	v_mov_b32_e32 v59, v14
	v_mov_b32_e32 v13, v27
	v_mov_b32_e32 v17, v19
	v_mov_b32_e32 v24, v27
	v_mov_b32_e32 v55, v12
	v_mov_b32_e32 v57, v16
	v_mov_b32_e32 v58, v19
	v_mov_b32_e32 v28, v12
	v_mov_b32_e32 v26, v10
	v_mov_b32_e32 v18, v14
	v_mov_b32_e32 v22, v16
	v_pk_add_f32 v[60:61], v[8:9], v[10:11]
	v_pk_add_f32 v[24:25], v[24:25], v[54:55] neg_lo:[0,1] neg_hi:[0,1]
	v_pk_add_f32 v[54:55], v[56:57], v[58:59] neg_lo:[0,1] neg_hi:[0,1]
	;; [unrolled: 1-line block ×4, first 2 shown]
	v_pk_add_f32 v[22:23], v[60:61], v[12:13]
	v_pk_add_f32 v[28:29], v[10:11], v[16:17] neg_lo:[0,1] neg_hi:[0,1]
	v_pk_add_f32 v[58:59], v[12:13], v[14:15] neg_lo:[0,1] neg_hi:[0,1]
	v_pk_add_f32 v[10:11], v[10:11], v[16:17]
	v_pk_add_f32 v[12:13], v[12:13], v[14:15]
	;; [unrolled: 1-line block ×4, first 2 shown]
	v_pk_fma_f32 v[10:11], v[10:11], 0.5, v[8:9] op_sel_hi:[1,0,1] neg_lo:[1,0,0] neg_hi:[1,0,0]
	v_pk_mul_f32 v[26:27], v[58:59], s[6:7] op_sel_hi:[1,0]
	v_pk_add_f32 v[54:55], v[24:25], v[54:55]
	v_mov_b32_e32 v24, v29
	v_mov_b32_e32 v25, v59
	;; [unrolled: 1-line block ×3, first 2 shown]
	v_pk_mul_f32 v[28:29], v[28:29], s[18:19] op_sel_hi:[1,0]
	v_pk_add_f32 v[22:23], v[14:15], v[16:17]
	v_pk_add_f32 v[16:17], v[26:27], v[10:11] op_sel:[1,0] op_sel_hi:[0,1]
	v_pk_add_f32 v[10:11], v[10:11], v[26:27] op_sel:[0,1] op_sel_hi:[1,0] neg_lo:[0,1] neg_hi:[0,1]
	v_pk_fma_f32 v[8:9], v[12:13], 0.5, v[8:9] op_sel_hi:[1,0,1] neg_lo:[1,0,0] neg_hi:[1,0,0]
	v_pk_add_f32 v[26:27], v[10:11], v[28:29] op_sel:[0,1] op_sel_hi:[1,0]
	v_pk_add_f32 v[80:81], v[16:17], v[28:29] op_sel:[0,1] op_sel_hi:[1,0] neg_lo:[0,1] neg_hi:[0,1]
	v_pk_mul_f32 v[62:63], v[58:59], s[16:17]
	v_mov_b32_e32 v27, v81
	v_pk_fma_f32 v[80:81], v[58:59], s[16:17], v[8:9] neg_lo:[1,0,0] neg_hi:[1,0,0]
	v_mov_b32_e32 v56, v29
	v_mov_b32_e32 v57, v62
	;; [unrolled: 1-line block ×3, first 2 shown]
	v_pk_mul_f32 v[14:15], v[24:25], s[6:7]
	v_pk_add_f32 v[16:17], v[16:17], v[56:57] neg_lo:[0,1] neg_hi:[0,1]
	v_pk_fma_f32 v[78:79], v[24:25], s[6:7], v[8:9]
	v_mov_b32_e32 v29, v15
	v_pk_fma_f32 v[56:57], v[18:19], s[2:3], v[16:17] op_sel_hi:[1,0,1]
	v_pk_fma_f32 v[16:17], v[24:25], s[6:7], v[8:9] neg_lo:[1,0,0] neg_hi:[1,0,0]
	v_pk_fma_f32 v[8:9], v[58:59], s[16:17], v[8:9]
	v_mov_b32_e32 v14, v15
	v_mov_b32_e32 v15, v62
	v_pk_add_f32 v[16:17], v[16:17], v[14:15] neg_lo:[0,1] neg_hi:[0,1]
	v_pk_add_f32 v[8:9], v[8:9], v[14:15]
	v_pk_mul_f32 v[12:13], v[54:55], s[2:3] op_sel_hi:[1,0]
	v_mov_b32_e32 v17, v9
	v_mov_b32_e32 v8, v11
	;; [unrolled: 1-line block ×3, first 2 shown]
	v_pk_add_f32 v[8:9], v[28:29], v[8:9]
	v_pk_mul_f32 v[60:61], v[18:19], s[2:3] op_sel_hi:[1,0]
	v_pk_fma_f32 v[28:29], v[54:55], s[2:3], v[8:9] op_sel_hi:[1,0,1]
	v_mov_b32_e32 v82, v60
	v_mov_b32_e32 v83, v12
	;; [unrolled: 1-line block ×5, first 2 shown]
	s_movk_i32 s6, 0x9f
	v_pk_add_f32 v[26:27], v[82:83], v[26:27]
	v_pk_add_f32 v[24:25], v[60:61], v[16:17]
	ds_write2_b64 v77, v[22:23], v[8:9] offset1:32
	v_mov_b32_e32 v8, v56
	v_mov_b32_e32 v9, v28
	v_cmp_gt_u16_e64 s[2:3], s3, v34
	v_cmp_lt_u16_e32 vcc, s6, v34
	ds_write2_b64 v77, v[26:27], v[8:9] offset0:64 offset1:96
	ds_write_b64 v77, v[24:25] offset:1024
	s_waitcnt lgkmcnt(0)
	s_barrier
	s_waitcnt lgkmcnt(0)
                                        ; implicit-def: $vgpr58_vgpr59
	s_and_saveexec_b64 s[6:7], vcc
	s_xor_b64 s[6:7], exec, s[6:7]
; %bb.24:
	v_mov_b32_e32 v58, v25
; %bb.25:
	s_andn2_saveexec_b64 s[6:7], s[6:7]
	s_cbranch_execz .LBB0_27
; %bb.26:
	v_add_u32_e32 v8, 0x800, v30
	ds_read2_b64 v[26:29], v8 offset0:64 offset1:224
	ds_read2_b64 v[22:25], v30 offset1:160
	v_add_u32_e32 v10, 0x1400, v30
	ds_read_b64 v[8:9], v30 offset:7680
	ds_read2_b64 v[18:21], v10 offset1:160
	s_waitcnt lgkmcnt(3)
	v_mov_b32_e32 v56, v28
	s_waitcnt lgkmcnt(2)
	v_mov_b32_e32 v57, v25
	v_mov_b32_e32 v28, v29
	;; [unrolled: 1-line block ×3, first 2 shown]
	s_waitcnt lgkmcnt(0)
	v_mov_b32_e32 v24, v18
	v_mov_b32_e32 v25, v9
	;; [unrolled: 1-line block ×4, first 2 shown]
.LBB0_27:
	s_or_b64 exec, exec, s[6:7]
	v_add_u32_e32 v8, 0xffffff60, v34
	v_cndmask_b32_e64 v8, v8, v34, s[2:3]
	v_mul_hi_i32_i24_e32 v9, 48, v8
	v_mul_i32_i24_e32 v8, 48, v8
	v_lshl_add_u64 v[54:55], s[0:1], 0, v[8:9]
	global_load_dwordx4 v[16:19], v[54:55], off offset:1280
	global_load_dwordx4 v[8:11], v[54:55], off offset:1264
	;; [unrolled: 1-line block ×3, first 2 shown]
	v_mov_b32_e32 v84, v27
	v_mov_b32_e32 v85, v56
	;; [unrolled: 1-line block ×14, first 2 shown]
	s_mov_b32 s6, 0x3d64c772
	s_mov_b32 s7, 0x3f4a47b2
	s_mov_b32 s16, s7
	s_mov_b32 s17, s6
	s_mov_b32 s18, 0x3eae86e6
	s_mov_b32 s0, 0xbf955555
	s_mov_b32 s19, 0xbf08b237
	s_mov_b32 s20, s19
	s_mov_b32 s21, s18
	s_waitcnt vmcnt(2)
	v_mov_b32_e32 v54, v19
	v_mov_b32_e32 v55, v18
	s_waitcnt vmcnt(1)
	v_pk_mul_f32 v[18:19], v[56:57], v[8:9]
	s_waitcnt vmcnt(0)
	v_mov_b32_e32 v90, v13
	v_mov_b32_e32 v18, v11
	v_pk_mul_f32 v[92:93], v[24:25], v[14:15]
	v_mov_b32_e32 v96, v17
	v_mov_b32_e32 v97, v9
	;; [unrolled: 1-line block ×11, first 2 shown]
	v_pk_mul_f32 v[26:27], v[26:27], v[18:19]
	v_mov_b32_e32 v18, v19
	v_pk_mul_f32 v[20:21], v[20:21], v[90:91]
	v_mov_b32_e32 v106, v93
	v_pk_mul_f32 v[28:29], v[28:29], v[96:97]
	v_pk_mul_f32 v[84:85], v[84:85], v[100:101]
	v_mov_b32_e32 v103, v54
	v_mov_b32_e32 v104, v54
	;; [unrolled: 1-line block ×5, first 2 shown]
	v_pk_fma_f32 v[18:19], v[60:61], v[8:9], v[18:19] neg_lo:[0,0,1] neg_hi:[0,0,1]
	v_pk_fma_f32 v[20:21], v[78:79], v[12:13], v[20:21]
	v_pk_fma_f32 v[78:79], v[80:81], v[14:15], v[106:107] neg_lo:[0,0,1] neg_hi:[0,0,1]
	v_pk_fma_f32 v[80:81], v[56:57], v[94:95], v[28:29]
	v_pk_fma_f32 v[28:29], v[56:57], v[94:95], v[28:29] neg_lo:[0,0,1] neg_hi:[0,0,1]
	v_pk_fma_f32 v[56:57], v[60:61], v[16:17], v[84:85] op_sel:[0,1,0] op_sel_hi:[1,0,1]
	v_pk_fma_f32 v[60:61], v[82:83], v[98:99], v[84:85] neg_lo:[0,0,1] neg_hi:[0,0,1]
	v_pk_mul_f32 v[82:83], v[88:89], v[102:103]
	v_pk_mul_f32 v[58:59], v[58:59], v[104:105]
	v_pk_fma_f32 v[26:27], v[62:63], v[10:11], v[26:27]
	v_pk_fma_f32 v[62:63], v[62:63], v[54:55], v[82:83]
	v_pk_fma_f32 v[82:83], v[86:87], v[92:93], v[82:83] neg_lo:[0,0,1] neg_hi:[0,0,1]
	v_pk_fma_f32 v[86:87], v[24:25], v[90:91], v[58:59]
	v_pk_fma_f32 v[24:25], v[24:25], v[90:91], v[58:59] neg_lo:[0,0,1] neg_hi:[0,0,1]
	v_pk_add_f32 v[84:85], v[18:19], v[78:79]
	v_mov_b32_e32 v29, v81
	v_mov_b32_e32 v61, v57
	;; [unrolled: 1-line block ×8, first 2 shown]
	v_pk_add_f32 v[88:89], v[26:27], v[20:21]
	v_mov_b32_e32 v62, v63
	v_mov_b32_e32 v63, v24
	v_pk_add_f32 v[58:59], v[58:59], v[18:19] neg_lo:[0,1] neg_hi:[0,1]
	v_pk_add_f32 v[18:19], v[28:29], v[24:25]
	v_pk_add_f32 v[24:25], v[60:61], v[82:83]
	v_mov_b32_e32 v27, v60
	v_mov_b32_e32 v56, v57
	;; [unrolled: 1-line block ×7, first 2 shown]
	v_pk_add_f32 v[28:29], v[18:19], v[24:25] neg_lo:[0,1] neg_hi:[0,1]
	v_mov_b32_e32 v24, v84
	v_mov_b32_e32 v19, v88
	v_pk_add_f32 v[20:21], v[26:27], v[20:21] neg_lo:[0,1] neg_hi:[0,1]
	v_pk_add_f32 v[26:27], v[62:63], v[56:57] neg_lo:[0,1] neg_hi:[0,1]
	v_pk_add_f32 v[56:57], v[78:79], v[84:85]
	v_pk_add_f32 v[60:61], v[24:25], v[18:19] neg_lo:[0,1] neg_hi:[0,1]
	v_mov_b32_e32 v19, v25
	v_mov_b32_e32 v80, v26
	;; [unrolled: 1-line block ×5, first 2 shown]
	v_pk_add_f32 v[24:25], v[18:19], v[56:57]
	v_pk_add_f32 v[62:63], v[26:27], v[20:21]
	v_pk_add_f32 v[80:81], v[80:81], v[82:83] neg_lo:[0,1] neg_hi:[0,1]
	v_mov_b32_e32 v82, v58
	v_mov_b32_e32 v27, v21
	v_pk_add_f32 v[18:19], v[22:23], v[24:25]
	v_pk_mul_f32 v[60:61], v[60:61], s[16:17]
	v_pk_add_f32 v[26:27], v[82:83], v[26:27] neg_lo:[0,1] neg_hi:[0,1]
	v_pk_mul_f32 v[22:23], v[28:29], s[6:7]
	v_pk_fma_f32 v[24:25], v[24:25], s[0:1], v[18:19] op_sel_hi:[1,0,1]
	v_pk_fma_f32 v[28:29], v[28:29], s[6:7], v[60:61]
	v_pk_add_f32 v[56:57], v[62:63], v[58:59]
	v_pk_mul_f32 v[26:27], v[26:27], s[18:19]
	v_pk_mul_f32 v[62:63], v[80:81], s[20:21]
	v_pk_add_f32 v[82:83], v[28:29], v[24:25]
	v_pk_add_f32 v[28:29], v[78:79], v[84:85] neg_lo:[0,1] neg_hi:[0,1]
	v_pk_add_f32 v[20:21], v[20:21], v[58:59] neg_lo:[0,1] neg_hi:[0,1]
	s_mov_b32 s0, 0x3f3bfb3b
	v_mov_b32_e32 v58, v22
	v_mov_b32_e32 v59, v61
	v_mov_b32_e32 v61, v23
	v_pk_fma_f32 v[80:81], v[80:81], s[20:21], v[26:27]
	s_mov_b32 s6, 0x3f5ff5aa
	v_pk_fma_f32 v[58:59], v[28:29], s[0:1], v[58:59] op_sel_hi:[1,0,1] neg_lo:[0,0,1] neg_hi:[0,0,1]
	v_pk_fma_f32 v[22:23], v[28:29], s[0:1], v[60:61] op_sel_hi:[1,0,1] neg_lo:[1,0,1] neg_hi:[1,0,1]
	v_mov_b32_e32 v28, v62
	v_mov_b32_e32 v29, v27
	;; [unrolled: 1-line block ×3, first 2 shown]
	s_mov_b32 s16, 0x3ee1c552
	v_pk_fma_f32 v[28:29], v[20:21], s[6:7], v[28:29] op_sel_hi:[1,0,1] neg_lo:[0,0,1] neg_hi:[0,0,1]
	v_pk_fma_f32 v[20:21], v[20:21], s[6:7], v[26:27] op_sel_hi:[1,0,1] neg_lo:[1,0,1] neg_hi:[1,0,1]
	v_pk_fma_f32 v[80:81], v[56:57], s[16:17], v[80:81] op_sel_hi:[1,0,1]
	v_pk_add_f32 v[26:27], v[58:59], v[24:25]
	v_pk_add_f32 v[24:25], v[22:23], v[24:25]
	v_pk_fma_f32 v[28:29], v[56:57], s[16:17], v[28:29] op_sel_hi:[1,0,1]
	v_pk_fma_f32 v[56:57], v[56:57], s[16:17], v[20:21] op_sel_hi:[1,0,1]
	v_pk_add_f32 v[22:23], v[26:27], v[28:29]
	v_pk_add_f32 v[20:21], v[26:27], v[28:29] neg_lo:[0,1] neg_hi:[0,1]
	v_pk_add_f32 v[58:59], v[24:25], v[56:57] neg_lo:[0,1] neg_hi:[0,1]
	v_pk_add_f32 v[24:25], v[24:25], v[56:57]
	v_pk_add_f32 v[60:61], v[82:83], v[80:81]
	v_pk_add_f32 v[62:63], v[82:83], v[80:81] neg_lo:[0,1] neg_hi:[0,1]
	v_mov_b32_e32 v26, v22
	v_mov_b32_e32 v27, v21
	;; [unrolled: 1-line block ×6, first 2 shown]
	s_and_saveexec_b64 s[0:1], s[2:3]
	s_cbranch_execz .LBB0_29
; %bb.28:
	v_mov_b32_e32 v61, v63
	ds_write2_b64 v30, v[18:19], v[60:61] offset1:160
	v_mov_b32_e32 v25, v59
	v_mov_b32_e32 v21, v23
	v_add_u32_e32 v18, 0x800, v30
	ds_write2_b64 v18, v[24:25], v[20:21] offset0:64 offset1:224
	v_add_u32_e32 v18, 0x1400, v30
	ds_write2_b64 v18, v[26:27], v[28:29] offset1:160
	ds_write_b64 v30, v[56:57] offset:7680
.LBB0_29:
	s_or_b64 exec, exec, s[0:1]
	v_lshlrev_b32_e32 v18, 3, v34
	v_mov_b32_e32 v19, 0
	v_lshl_add_u64 v[20:21], s[14:15], 0, v[18:19]
	v_add_co_u32_e32 v22, vcc, 0x2000, v20
	s_waitcnt lgkmcnt(0)
	s_nop 0
	v_addc_co_u32_e32 v23, vcc, 0, v21, vcc
	s_barrier
	global_load_dwordx2 v[58:59], v[22:23], off offset:768
	s_mov_b64 s[0:1], 0x2300
	v_lshl_add_u64 v[18:19], v[20:21], 0, s[0:1]
	v_add_co_u32_e32 v20, vcc, 0x3000, v20
	s_nop 1
	v_addc_co_u32_e32 v21, vcc, 0, v21, vcc
	global_load_dwordx2 v[62:63], v[20:21], off offset:1152
	global_load_dwordx2 v[78:79], v[20:21], off offset:2944
	;; [unrolled: 1-line block ×3, first 2 shown]
	ds_read2_b64 v[22:25], v30 offset1:224
	v_add_u32_e32 v20, 0x1100, v30
	s_waitcnt vmcnt(3) lgkmcnt(0)
	v_mul_f32_e32 v21, v23, v59
	v_mul_f32_e32 v61, v22, v59
	v_fma_f32 v60, v22, v58, -v21
	v_fmac_f32_e32 v61, v23, v58
	ds_write_b64 v30, v[60:61]
	ds_read2_b64 v[58:61], v20 offset0:16 offset1:240
	s_waitcnt vmcnt(0)
	v_mul_f32_e32 v21, v25, v81
	v_mul_f32_e32 v23, v24, v81
	v_fma_f32 v22, v24, v80, -v21
	v_fmac_f32_e32 v23, v25, v80
	ds_write_b64 v30, v[22:23] offset:1792
	s_waitcnt lgkmcnt(1)
	v_mul_f32_e32 v21, v59, v63
	v_mul_f32_e32 v23, v58, v63
	;; [unrolled: 1-line block ×4, first 2 shown]
	v_fma_f32 v22, v58, v62, -v21
	v_fmac_f32_e32 v23, v59, v62
	v_fma_f32 v24, v60, v78, -v24
	v_fmac_f32_e32 v25, v61, v78
	ds_write2_b64 v20, v[22:23], v[24:25] offset0:16 offset1:240
	s_and_saveexec_b64 s[0:1], s[4:5]
	s_cbranch_execz .LBB0_31
; %bb.30:
	global_load_dwordx2 v[22:23], v[18:19], off offset:3584
	v_add_co_u32_e32 v18, vcc, 0x1000, v18
	s_nop 1
	v_addc_co_u32_e32 v19, vcc, 0, v19, vcc
	global_load_dwordx2 v[18:19], v[18:19], off offset:3968
	ds_read_b64 v[24:25], v30 offset:3584
	ds_read_b64 v[58:59], v30 offset:8064
	s_waitcnt vmcnt(1) lgkmcnt(1)
	v_mul_f32_e32 v21, v25, v23
	v_mul_f32_e32 v61, v24, v23
	v_fma_f32 v60, v24, v22, -v21
	v_fmac_f32_e32 v61, v25, v22
	ds_write_b64 v30, v[60:61] offset:3584
	s_waitcnt vmcnt(0) lgkmcnt(1)
	v_mul_f32_e32 v21, v59, v19
	v_mul_f32_e32 v23, v58, v19
	v_fma_f32 v22, v58, v18, -v21
	v_fmac_f32_e32 v23, v59, v18
	ds_write_b64 v30, v[22:23] offset:8064
.LBB0_31:
	s_or_b64 exec, exec, s[0:1]
	s_waitcnt lgkmcnt(0)
	s_barrier
	ds_read2_b64 v[22:25], v30 offset1:224
	ds_read2_b64 v[18:21], v20 offset0:16 offset1:240
	v_lshlrev_b32_e32 v58, 3, v76
	s_and_saveexec_b64 s[0:1], s[4:5]
	s_cbranch_execz .LBB0_33
; %bb.32:
	ds_read_b64 v[26:27], v30 offset:3584
	ds_read_b64 v[28:29], v30 offset:8064
.LBB0_33:
	s_or_b64 exec, exec, s[0:1]
	s_waitcnt lgkmcnt(0)
	v_pk_add_f32 v[62:63], v[22:23], v[18:19] neg_lo:[0,1] neg_hi:[0,1]
	v_pk_add_f32 v[80:81], v[24:25], v[20:21] neg_lo:[0,1] neg_hi:[0,1]
	;; [unrolled: 1-line block ×3, first 2 shown]
	v_pk_fma_f32 v[60:61], v[22:23], 2.0, v[62:63] op_sel_hi:[1,0,1] neg_lo:[0,0,1] neg_hi:[0,0,1]
	v_pk_fma_f32 v[18:19], v[26:27], 2.0, v[20:21] op_sel_hi:[1,0,1] neg_lo:[0,0,1] neg_hi:[0,0,1]
	;; [unrolled: 1-line block ×3, first 2 shown]
	s_barrier
	ds_write_b128 v65, v[60:63]
	ds_write_b128 v58, v[78:81]
	s_and_saveexec_b64 s[0:1], s[4:5]
	s_cbranch_execz .LBB0_35
; %bb.34:
	ds_write_b128 v64, v[18:21]
.LBB0_35:
	s_or_b64 exec, exec, s[0:1]
	v_add_u32_e32 v26, 0x1100, v30
	s_waitcnt lgkmcnt(0)
	s_barrier
	ds_read2_b64 v[22:25], v30 offset1:224
	ds_read2_b64 v[26:29], v26 offset0:16 offset1:240
	v_mov_b32_e32 v60, v46
	v_mov_b32_e32 v61, v46
	;; [unrolled: 1-line block ×4, first 2 shown]
	s_and_saveexec_b64 s[0:1], s[4:5]
	s_cbranch_execz .LBB0_37
; %bb.36:
	ds_read_b64 v[18:19], v30 offset:3584
	ds_read_b64 v[20:21], v30 offset:8064
.LBB0_37:
	s_or_b64 exec, exec, s[0:1]
	s_waitcnt lgkmcnt(0)
	v_pk_mul_f32 v[62:63], v[58:59], v[26:27]
	v_pk_mul_f32 v[64:65], v[58:59], v[28:29]
	v_mul_f32_e32 v58, v47, v21
	v_fmac_f32_e32 v58, v46, v20
	v_mul_f32_e32 v20, v47, v20
	v_fma_f32 v59, v46, v21, -v20
	v_pk_add_f32 v[58:59], v[18:19], v[58:59] neg_lo:[0,1] neg_hi:[0,1]
	v_pk_fma_f32 v[20:21], v[60:61], v[26:27], v[62:63] op_sel:[0,0,1] op_sel_hi:[1,1,0] neg_lo:[0,0,1] neg_hi:[0,0,1]
	v_pk_fma_f32 v[46:47], v[18:19], 2.0, v[58:59] op_sel_hi:[1,0,1] neg_lo:[0,0,1] neg_hi:[0,0,1]
	v_pk_fma_f32 v[18:19], v[60:61], v[26:27], v[62:63] op_sel:[0,0,1] op_sel_hi:[1,1,0]
	s_nop 0
	v_mov_b32_e32 v19, v21
	v_pk_add_f32 v[18:19], v[22:23], v[18:19] neg_lo:[0,1] neg_hi:[0,1]
	s_barrier
	v_pk_fma_f32 v[20:21], v[22:23], 2.0, v[18:19] op_sel_hi:[1,0,1] neg_lo:[0,0,1] neg_hi:[0,0,1]
	ds_write2_b64 v69, v[20:21], v[18:19] offset1:2
	v_pk_fma_f32 v[18:19], v[60:61], v[28:29], v[64:65] op_sel:[0,0,1] op_sel_hi:[1,1,0]
	v_pk_fma_f32 v[20:21], v[60:61], v[28:29], v[64:65] op_sel:[0,0,1] op_sel_hi:[1,1,0] neg_lo:[0,0,1] neg_hi:[0,0,1]
	s_nop 0
	v_mov_b32_e32 v19, v21
	v_pk_add_f32 v[18:19], v[24:25], v[18:19] neg_lo:[0,1] neg_hi:[0,1]
	s_nop 0
	v_pk_fma_f32 v[20:21], v[24:25], 2.0, v[18:19] op_sel_hi:[1,0,1] neg_lo:[0,0,1] neg_hi:[0,0,1]
	ds_write2_b64 v66, v[20:21], v[18:19] offset1:2
	s_and_saveexec_b64 s[0:1], s[4:5]
	s_cbranch_execz .LBB0_39
; %bb.38:
	s_movk_i32 s6, 0x7fc
	v_and_or_b32 v18, v31, s6, v35
	v_lshlrev_b32_e32 v18, 3, v18
	ds_write2_b64 v18, v[46:47], v[58:59] offset1:2
.LBB0_39:
	s_or_b64 exec, exec, s[0:1]
	v_add_u32_e32 v22, 0x1100, v30
	s_waitcnt lgkmcnt(0)
	s_barrier
	ds_read2_b64 v[18:21], v30 offset1:224
	ds_read2_b64 v[22:25], v22 offset0:16 offset1:240
	v_mov_b32_e32 v60, v48
	v_mov_b32_e32 v61, v48
	;; [unrolled: 1-line block ×4, first 2 shown]
	s_and_saveexec_b64 s[0:1], s[4:5]
	s_cbranch_execz .LBB0_41
; %bb.40:
	ds_read_b64 v[46:47], v30 offset:3584
	ds_read_b64 v[58:59], v30 offset:8064
.LBB0_41:
	s_or_b64 exec, exec, s[0:1]
	s_waitcnt lgkmcnt(0)
	v_pk_mul_f32 v[26:27], v[48:49], v[58:59] op_sel:[0,1]
	s_nop 0
	v_pk_fma_f32 v[28:29], v[48:49], v[58:59], v[26:27] op_sel:[0,0,1] op_sel_hi:[1,1,0]
	v_pk_fma_f32 v[26:27], v[48:49], v[58:59], v[26:27] op_sel:[0,0,1] op_sel_hi:[1,0,0] neg_lo:[1,0,0] neg_hi:[1,0,0]
	s_barrier
	v_mov_b32_e32 v29, v27
	v_pk_add_f32 v[28:29], v[46:47], v[28:29] neg_lo:[0,1] neg_hi:[0,1]
	s_nop 0
	v_pk_fma_f32 v[26:27], v[46:47], 2.0, v[28:29] op_sel_hi:[1,0,1] neg_lo:[0,0,1] neg_hi:[0,0,1]
	v_pk_mul_f32 v[46:47], v[62:63], v[22:23]
	s_nop 0
	v_pk_fma_f32 v[48:49], v[60:61], v[22:23], v[46:47] op_sel:[0,0,1] op_sel_hi:[1,1,0]
	v_pk_fma_f32 v[22:23], v[60:61], v[22:23], v[46:47] op_sel:[0,0,1] op_sel_hi:[1,1,0] neg_lo:[0,0,1] neg_hi:[0,0,1]
	s_nop 0
	v_mov_b32_e32 v49, v23
	v_pk_add_f32 v[22:23], v[18:19], v[48:49] neg_lo:[0,1] neg_hi:[0,1]
	s_nop 0
	v_pk_fma_f32 v[18:19], v[18:19], 2.0, v[22:23] op_sel_hi:[1,0,1] neg_lo:[0,0,1] neg_hi:[0,0,1]
	ds_write2_b64 v71, v[18:19], v[22:23] offset1:4
	v_pk_mul_f32 v[18:19], v[62:63], v[24:25]
	s_nop 0
	v_pk_fma_f32 v[22:23], v[60:61], v[24:25], v[18:19] op_sel:[0,0,1] op_sel_hi:[1,1,0]
	v_pk_fma_f32 v[18:19], v[60:61], v[24:25], v[18:19] op_sel:[0,0,1] op_sel_hi:[1,1,0] neg_lo:[0,0,1] neg_hi:[0,0,1]
	s_nop 0
	v_mov_b32_e32 v23, v19
	v_pk_add_f32 v[18:19], v[20:21], v[22:23] neg_lo:[0,1] neg_hi:[0,1]
	s_nop 0
	v_pk_fma_f32 v[20:21], v[20:21], 2.0, v[18:19] op_sel_hi:[1,0,1] neg_lo:[0,0,1] neg_hi:[0,0,1]
	ds_write2_b64 v70, v[20:21], v[18:19] offset1:4
	s_and_saveexec_b64 s[0:1], s[4:5]
	s_cbranch_execz .LBB0_43
; %bb.42:
	s_movk_i32 s6, 0x7f8
	v_and_or_b32 v18, v31, s6, v37
	v_lshlrev_b32_e32 v18, 3, v18
	ds_write2_b64 v18, v[26:27], v[28:29] offset1:4
.LBB0_43:
	s_or_b64 exec, exec, s[0:1]
	v_add_u32_e32 v22, 0x1100, v30
	s_waitcnt lgkmcnt(0)
	s_barrier
	ds_read2_b64 v[18:21], v30 offset1:224
	ds_read2_b64 v[22:25], v22 offset0:16 offset1:240
	v_mov_b32_e32 v58, v52
	v_mov_b32_e32 v59, v52
	;; [unrolled: 1-line block ×4, first 2 shown]
	s_and_saveexec_b64 s[0:1], s[4:5]
	s_cbranch_execz .LBB0_45
; %bb.44:
	ds_read_b64 v[26:27], v30 offset:3584
	ds_read_b64 v[28:29], v30 offset:8064
.LBB0_45:
	s_or_b64 exec, exec, s[0:1]
	s_waitcnt lgkmcnt(0)
	v_pk_mul_f32 v[46:47], v[52:53], v[28:29] op_sel:[0,1]
	s_nop 0
	v_pk_fma_f32 v[48:49], v[52:53], v[28:29], v[46:47] op_sel:[0,0,1] op_sel_hi:[1,1,0]
	v_pk_fma_f32 v[28:29], v[52:53], v[28:29], v[46:47] op_sel:[0,0,1] op_sel_hi:[1,0,0] neg_lo:[1,0,0] neg_hi:[1,0,0]
	s_barrier
	v_mov_b32_e32 v49, v29
	v_pk_add_f32 v[48:49], v[26:27], v[48:49] neg_lo:[0,1] neg_hi:[0,1]
	s_nop 0
	v_pk_fma_f32 v[46:47], v[26:27], 2.0, v[48:49] op_sel_hi:[1,0,1] neg_lo:[0,0,1] neg_hi:[0,0,1]
	v_pk_mul_f32 v[26:27], v[60:61], v[22:23]
	s_nop 0
	v_pk_fma_f32 v[28:29], v[58:59], v[22:23], v[26:27] op_sel:[0,0,1] op_sel_hi:[1,1,0]
	v_pk_fma_f32 v[22:23], v[58:59], v[22:23], v[26:27] op_sel:[0,0,1] op_sel_hi:[1,1,0] neg_lo:[0,0,1] neg_hi:[0,0,1]
	s_nop 0
	v_mov_b32_e32 v29, v23
	v_pk_add_f32 v[22:23], v[18:19], v[28:29] neg_lo:[0,1] neg_hi:[0,1]
	s_nop 0
	v_pk_fma_f32 v[18:19], v[18:19], 2.0, v[22:23] op_sel_hi:[1,0,1] neg_lo:[0,0,1] neg_hi:[0,0,1]
	ds_write2_b64 v75, v[18:19], v[22:23] offset1:8
	v_pk_mul_f32 v[18:19], v[60:61], v[24:25]
	s_nop 0
	v_pk_fma_f32 v[22:23], v[58:59], v[24:25], v[18:19] op_sel:[0,0,1] op_sel_hi:[1,1,0]
	v_pk_fma_f32 v[18:19], v[58:59], v[24:25], v[18:19] op_sel:[0,0,1] op_sel_hi:[1,1,0] neg_lo:[0,0,1] neg_hi:[0,0,1]
	s_nop 0
	v_mov_b32_e32 v23, v19
	v_pk_add_f32 v[18:19], v[20:21], v[22:23] neg_lo:[0,1] neg_hi:[0,1]
	s_nop 0
	v_pk_fma_f32 v[20:21], v[20:21], 2.0, v[18:19] op_sel_hi:[1,0,1] neg_lo:[0,0,1] neg_hi:[0,0,1]
	ds_write2_b64 v73, v[20:21], v[18:19] offset1:8
	s_and_saveexec_b64 s[0:1], s[4:5]
	s_cbranch_execz .LBB0_47
; %bb.46:
	s_movk_i32 s6, 0x7f0
	v_and_or_b32 v18, v31, s6, v67
	v_lshlrev_b32_e32 v18, 3, v18
	ds_write2_b64 v18, v[46:47], v[48:49] offset1:8
.LBB0_47:
	s_or_b64 exec, exec, s[0:1]
	v_add_u32_e32 v18, 0x1100, v30
	s_waitcnt lgkmcnt(0)
	s_barrier
	ds_read2_b64 v[22:25], v30 offset1:224
	ds_read2_b64 v[26:29], v18 offset0:16 offset1:240
	v_mov_b32_e32 v62, v50
	v_mov_b32_e32 v63, v50
	;; [unrolled: 1-line block ×4, first 2 shown]
	s_and_saveexec_b64 s[0:1], s[4:5]
	s_cbranch_execz .LBB0_49
; %bb.48:
	ds_read_b64 v[46:47], v30 offset:3584
	ds_read_b64 v[48:49], v30 offset:8064
.LBB0_49:
	s_or_b64 exec, exec, s[0:1]
	s_waitcnt lgkmcnt(0)
	v_pk_mul_f32 v[20:21], v[50:51], v[48:49] op_sel:[0,1]
	s_nop 0
	v_pk_fma_f32 v[66:67], v[50:51], v[48:49], v[20:21] op_sel:[0,0,1] op_sel_hi:[1,1,0]
	v_pk_fma_f32 v[20:21], v[50:51], v[48:49], v[20:21] op_sel:[0,0,1] op_sel_hi:[1,0,0] neg_lo:[1,0,0] neg_hi:[1,0,0]
	v_pk_mul_f32 v[48:49], v[64:65], v[26:27]
	s_barrier
	v_pk_fma_f32 v[50:51], v[62:63], v[26:27], v[48:49] op_sel:[0,0,1] op_sel_hi:[1,1,0]
	v_pk_fma_f32 v[26:27], v[62:63], v[26:27], v[48:49] op_sel:[0,0,1] op_sel_hi:[1,1,0] neg_lo:[0,0,1] neg_hi:[0,0,1]
	s_nop 0
	v_mov_b32_e32 v51, v27
	v_pk_add_f32 v[26:27], v[22:23], v[50:51] neg_lo:[0,1] neg_hi:[0,1]
	v_mov_b32_e32 v67, v21
	v_pk_fma_f32 v[22:23], v[22:23], 2.0, v[26:27] op_sel_hi:[1,0,1] neg_lo:[0,0,1] neg_hi:[0,0,1]
	ds_write2_b64 v74, v[22:23], v[26:27] offset1:16
	v_pk_mul_f32 v[22:23], v[64:65], v[28:29]
	v_mov_b32_e32 v60, v4
	v_pk_fma_f32 v[26:27], v[62:63], v[28:29], v[22:23] op_sel:[0,0,1] op_sel_hi:[1,1,0]
	v_pk_fma_f32 v[22:23], v[62:63], v[28:29], v[22:23] op_sel:[0,0,1] op_sel_hi:[1,1,0] neg_lo:[0,0,1] neg_hi:[0,0,1]
	v_mov_b32_e32 v61, v4
	v_mov_b32_e32 v27, v23
	v_pk_add_f32 v[22:23], v[24:25], v[26:27] neg_lo:[0,1] neg_hi:[0,1]
	v_mov_b32_e32 v4, v5
	v_mov_b32_e32 v58, v6
	v_mov_b32_e32 v59, v6
	v_mov_b32_e32 v6, v7
	v_mov_b32_e32 v52, v0
	v_mov_b32_e32 v53, v0
	v_mov_b32_e32 v0, v1
	v_mov_b32_e32 v18, v2
	v_mov_b32_e32 v19, v2
	v_mov_b32_e32 v2, v3
	v_pk_add_f32 v[20:21], v[46:47], v[66:67] neg_lo:[0,1] neg_hi:[0,1]
	v_pk_fma_f32 v[24:25], v[24:25], 2.0, v[22:23] op_sel_hi:[1,0,1] neg_lo:[0,0,1] neg_hi:[0,0,1]
	ds_write2_b64 v72, v[24:25], v[22:23] offset1:16
	s_and_saveexec_b64 s[0:1], s[4:5]
	s_cbranch_execz .LBB0_51
; %bb.50:
	s_movk_i32 s6, 0x7e0
	v_and_or_b32 v22, v31, s6, v68
	v_lshlrev_b32_e32 v24, 3, v22
	v_pk_fma_f32 v[22:23], v[46:47], 2.0, v[20:21] op_sel_hi:[1,0,1] neg_lo:[0,0,1] neg_hi:[0,0,1]
	ds_write2_b64 v24, v[22:23], v[20:21] offset1:16
.LBB0_51:
	s_or_b64 exec, exec, s[0:1]
	s_waitcnt lgkmcnt(0)
	s_barrier
	ds_read2_b64 v[22:25], v30 offset1:224
	v_add_u32_e32 v26, 0xe00, v30
	ds_read2_b64 v[26:29], v26 offset1:224
	ds_read_b64 v[46:47], v30 offset:7168
	s_mov_b32 s0, 0x3f737871
	s_mov_b32 s6, 0x3f167918
	s_waitcnt lgkmcnt(2)
	v_pk_mul_f32 v[4:5], v[4:5], v[24:25]
	s_waitcnt lgkmcnt(1)
	v_pk_mul_f32 v[0:1], v[0:1], v[28:29]
	v_pk_fma_f32 v[48:49], v[60:61], v[24:25], v[4:5] op_sel:[0,0,1] op_sel_hi:[1,1,0]
	v_pk_fma_f32 v[4:5], v[60:61], v[24:25], v[4:5] op_sel:[0,0,1] op_sel_hi:[1,1,0] neg_lo:[0,0,1] neg_hi:[0,0,1]
	s_mov_b32 s14, 0x3e9e377a
	v_mov_b32_e32 v49, v5
	v_pk_mul_f32 v[4:5], v[6:7], v[26:27]
	s_waitcnt lgkmcnt(0)
	v_pk_fma_f32 v[6:7], v[58:59], v[26:27], v[4:5] op_sel:[0,0,1] op_sel_hi:[1,1,0]
	v_pk_fma_f32 v[4:5], v[58:59], v[26:27], v[4:5] op_sel:[0,0,1] op_sel_hi:[1,1,0] neg_lo:[0,0,1] neg_hi:[0,0,1]
	s_barrier
	v_mov_b32_e32 v7, v5
	v_pk_fma_f32 v[4:5], v[52:53], v[28:29], v[0:1] op_sel:[0,0,1] op_sel_hi:[1,1,0]
	v_pk_fma_f32 v[0:1], v[52:53], v[28:29], v[0:1] op_sel:[0,0,1] op_sel_hi:[1,1,0] neg_lo:[0,0,1] neg_hi:[0,0,1]
	v_pk_add_f32 v[50:51], v[48:49], v[6:7] neg_lo:[0,1] neg_hi:[0,1]
	v_mov_b32_e32 v5, v1
	v_pk_mul_f32 v[0:1], v[2:3], v[46:47]
	v_pk_add_f32 v[2:3], v[6:7], v[4:5]
	v_pk_fma_f32 v[24:25], v[18:19], v[46:47], v[0:1] op_sel:[0,0,1] op_sel_hi:[1,1,0]
	v_pk_fma_f32 v[0:1], v[18:19], v[46:47], v[0:1] op_sel:[0,0,1] op_sel_hi:[1,1,0] neg_lo:[0,0,1] neg_hi:[0,0,1]
	v_pk_fma_f32 v[2:3], v[2:3], 0.5, v[22:23] op_sel_hi:[1,0,1] neg_lo:[1,0,0] neg_hi:[1,0,0]
	v_mov_b32_e32 v25, v1
	v_pk_add_f32 v[26:27], v[48:49], v[24:25] neg_lo:[0,1] neg_hi:[0,1]
	v_pk_add_f32 v[28:29], v[6:7], v[4:5] neg_lo:[0,1] neg_hi:[0,1]
	v_pk_mul_f32 v[18:19], v[26:27], s[0:1] op_sel_hi:[1,0]
	v_pk_add_f32 v[52:53], v[24:25], v[4:5] neg_lo:[0,1] neg_hi:[0,1]
	v_pk_mul_f32 v[46:47], v[28:29], s[6:7] op_sel_hi:[1,0]
	v_pk_add_f32 v[50:51], v[50:51], v[52:53]
	v_pk_add_f32 v[52:53], v[2:3], v[18:19] op_sel:[0,1] op_sel_hi:[1,0] neg_lo:[0,1] neg_hi:[0,1]
	v_pk_add_f32 v[2:3], v[2:3], v[18:19] op_sel:[0,1] op_sel_hi:[1,0]
	v_pk_add_f32 v[0:1], v[22:23], v[48:49]
	v_pk_add_f32 v[18:19], v[2:3], v[46:47] op_sel:[0,1] op_sel_hi:[1,0]
	v_pk_add_f32 v[46:47], v[52:53], v[46:47] op_sel:[0,1] op_sel_hi:[1,0] neg_lo:[0,1] neg_hi:[0,1]
	v_pk_add_f32 v[0:1], v[0:1], v[6:7]
	v_mov_b32_e32 v2, v46
	v_mov_b32_e32 v3, v19
	;; [unrolled: 1-line block ×3, first 2 shown]
	v_pk_add_f32 v[46:47], v[48:49], v[24:25]
	v_pk_add_f32 v[0:1], v[0:1], v[4:5]
	v_pk_fma_f32 v[22:23], v[46:47], 0.5, v[22:23] op_sel_hi:[1,0,1] neg_lo:[1,0,0] neg_hi:[1,0,0]
	v_pk_mul_f32 v[28:29], v[28:29], s[0:1] op_sel_hi:[1,0]
	v_pk_add_f32 v[6:7], v[6:7], v[48:49] neg_lo:[0,1] neg_hi:[0,1]
	v_pk_add_f32 v[4:5], v[4:5], v[24:25] neg_lo:[0,1] neg_hi:[0,1]
	v_pk_mul_f32 v[26:27], v[26:27], s[6:7] op_sel_hi:[1,0]
	v_pk_add_f32 v[6:7], v[6:7], v[4:5]
	v_pk_add_f32 v[4:5], v[22:23], v[28:29] op_sel:[0,1] op_sel_hi:[1,0]
	v_pk_add_f32 v[22:23], v[22:23], v[28:29] op_sel:[0,1] op_sel_hi:[1,0] neg_lo:[0,1] neg_hi:[0,1]
	v_pk_add_f32 v[0:1], v[0:1], v[24:25]
	v_pk_add_f32 v[22:23], v[22:23], v[26:27] op_sel:[0,1] op_sel_hi:[1,0]
	v_pk_add_f32 v[24:25], v[4:5], v[26:27] op_sel:[0,1] op_sel_hi:[1,0] neg_lo:[0,1] neg_hi:[0,1]
	v_mov_b32_e32 v5, v23
	v_mov_b32_e32 v4, v24
	;; [unrolled: 1-line block ×3, first 2 shown]
	v_pk_fma_f32 v[2:3], v[50:51], s[14:15], v[2:3] op_sel_hi:[1,0,1]
	v_pk_fma_f32 v[18:19], v[50:51], s[14:15], v[18:19] op_sel_hi:[1,0,1]
	;; [unrolled: 1-line block ×4, first 2 shown]
	ds_write2_b64 v77, v[0:1], v[2:3] offset1:32
	ds_write2_b64 v77, v[4:5], v[6:7] offset0:64 offset1:96
	ds_write_b64 v77, v[18:19] offset:1024
	s_waitcnt lgkmcnt(0)
	s_barrier
	s_and_saveexec_b64 s[0:1], s[2:3]
	s_cbranch_execz .LBB0_53
; %bb.52:
	v_add_u32_e32 v4, 0x800, v30
	v_add_u32_e32 v18, 0x1400, v30
	ds_read2_b64 v[0:3], v30 offset1:160
	ds_read2_b64 v[4:7], v4 offset0:64 offset1:224
	ds_read2_b64 v[18:21], v18 offset1:160
	ds_read_b64 v[56:57], v30 offset:7680
.LBB0_53:
	s_or_b64 exec, exec, s[0:1]
	s_and_saveexec_b64 s[0:1], s[2:3]
	s_cbranch_execz .LBB0_55
; %bb.54:
	v_mov_b32_e32 v24, v17
	v_mov_b32_e32 v25, v16
	s_waitcnt lgkmcnt(2)
	v_pk_mul_f32 v[58:59], v[24:25], v[6:7]
	v_mov_b32_e32 v50, v7
	v_mov_b32_e32 v58, v59
	v_pk_mul_f32 v[16:17], v[16:17], v[6:7]
	v_pk_mul_f32 v[50:51], v[24:25], v[50:51]
	v_pk_fma_f32 v[6:7], v[24:25], v[6:7], v[58:59] neg_lo:[1,0,0] neg_hi:[1,0,0]
	s_waitcnt lgkmcnt(1)
	v_pk_mul_f32 v[24:25], v[54:55], v[18:19]
	v_mov_b32_e32 v22, v55
	v_mov_b32_e32 v23, v54
	s_waitcnt lgkmcnt(0)
	v_pk_mul_f32 v[28:29], v[14:15], v[56:57] op_sel_hi:[1,0]
	v_mov_b32_e32 v46, v57
	v_mov_b32_e32 v24, v25
	v_pk_mul_f32 v[26:27], v[8:9], v[2:3] op_sel_hi:[1,0]
	v_pk_mul_f32 v[22:23], v[22:23], v[18:19]
	v_mov_b32_e32 v48, v19
	v_pk_fma_f32 v[18:19], v[54:55], v[18:19], v[24:25] neg_lo:[1,0,0] neg_hi:[1,0,0]
	v_pk_fma_f32 v[24:25], v[14:15], v[46:47], v[28:29] op_sel:[0,0,1] op_sel_hi:[1,0,0] neg_lo:[0,0,1] neg_hi:[0,0,1]
	v_pk_fma_f32 v[14:15], v[14:15], v[46:47], v[28:29] op_sel:[0,0,1] op_sel_hi:[1,0,0]
	v_pk_mul_f32 v[56:57], v[12:13], v[20:21] op_sel_hi:[1,0]
	v_mov_b32_e32 v25, v15
	v_pk_fma_f32 v[14:15], v[8:9], v[2:3], v[26:27] op_sel:[0,1,1] op_sel_hi:[1,1,0] neg_lo:[0,0,1] neg_hi:[0,0,1]
	v_pk_fma_f32 v[2:3], v[8:9], v[2:3], v[26:27] op_sel:[0,1,1] op_sel_hi:[1,1,0]
	v_pk_mul_f32 v[52:53], v[10:11], v[4:5] op_sel_hi:[1,0]
	v_mov_b32_e32 v15, v3
	v_pk_fma_f32 v[2:3], v[12:13], v[20:21], v[56:57] op_sel:[0,1,1] op_sel_hi:[1,1,0] neg_lo:[0,0,1] neg_hi:[0,0,1]
	v_pk_fma_f32 v[8:9], v[12:13], v[20:21], v[56:57] op_sel:[0,1,1] op_sel_hi:[1,1,0]
	v_pk_mul_f32 v[48:49], v[54:55], v[48:49]
	v_mov_b32_e32 v3, v9
	v_pk_fma_f32 v[8:9], v[10:11], v[4:5], v[52:53] op_sel:[0,1,1] op_sel_hi:[1,1,0] neg_lo:[0,0,1] neg_hi:[0,0,1]
	v_pk_fma_f32 v[4:5], v[10:11], v[4:5], v[52:53] op_sel:[0,1,1] op_sel_hi:[1,1,0]
	v_mov_b32_e32 v23, v24
	v_mov_b32_e32 v9, v5
	;; [unrolled: 1-line block ×5, first 2 shown]
	v_pk_add_f32 v[4:5], v[24:25], v[14:15]
	v_pk_add_f32 v[10:11], v[2:3], v[8:9]
	v_pk_add_f32 v[12:13], v[14:15], v[24:25] neg_lo:[0,1] neg_hi:[0,1]
	v_pk_add_f32 v[20:21], v[8:9], v[2:3] neg_lo:[0,1] neg_hi:[0,1]
	v_pk_add_f32 v[14:15], v[22:23], v[48:49]
	v_pk_add_f32 v[2:3], v[16:17], v[50:51]
	v_mov_b32_e32 v19, v14
	v_mov_b32_e32 v7, v2
	v_pk_add_f32 v[8:9], v[18:19], v[6:7] neg_lo:[0,1] neg_hi:[0,1]
	s_mov_b32 s2, 0xbeae86e6
	v_mov_b32_e32 v22, v8
	s_mov_b32 s3, 0x3f08b237
	v_pk_add_f32 v[24:25], v[8:9], v[20:21]
	v_mov_b32_e32 v26, v8
	v_mov_b32_e32 v27, v13
	;; [unrolled: 1-line block ×6, first 2 shown]
	v_pk_add_f32 v[8:9], v[26:27], v[8:9] neg_lo:[0,1] neg_hi:[0,1]
	s_mov_b32 s14, s3
	s_mov_b32 s15, s2
	v_mov_b32_e32 v26, v11
	v_mov_b32_e32 v27, v6
	;; [unrolled: 1-line block ×4, first 2 shown]
	v_pk_add_f32 v[16:17], v[16:17], v[22:23] neg_lo:[0,1] neg_hi:[0,1]
	v_pk_mul_f32 v[8:9], v[8:9], s[14:15]
	v_pk_add_f32 v[6:7], v[26:27], v[6:7]
	v_pk_add_f32 v[18:19], v[2:3], v[14:15]
	v_pk_mul_f32 v[22:23], v[16:17], s[2:3]
	v_pk_fma_f32 v[16:17], v[16:17], s[2:3], v[8:9]
	v_pk_add_f32 v[26:27], v[6:7], v[18:19]
	v_mov_b32_e32 v6, v5
	v_mov_b32_e32 v19, v3
	s_mov_b32 s2, 0x3f4a47b2
	v_pk_add_f32 v[28:29], v[6:7], v[18:19] neg_lo:[0,1] neg_hi:[0,1]
	s_mov_b32 s3, 0x3d64c772
	v_mov_b32_e32 v19, v15
	v_mov_b32_e32 v6, v11
	v_pk_add_f32 v[6:7], v[18:19], v[6:7] neg_lo:[0,1] neg_hi:[0,1]
	s_mov_b32 s14, s3
	s_mov_b32 s15, s2
	v_pk_mul_f32 v[6:7], v[6:7], s[14:15]
	v_pk_add_f32 v[0:1], v[0:1], v[26:27]
	v_pk_mul_f32 v[46:47], v[28:29], s[2:3]
	v_pk_fma_f32 v[18:19], v[28:29], s[2:3], v[6:7]
	s_mov_b32 s2, 0xbf955555
	v_pk_add_f32 v[24:25], v[24:25], v[12:13]
	s_mov_b32 s6, 0xbee1c552
	v_pk_fma_f32 v[26:27], v[26:27], s[2:3], v[0:1] op_sel_hi:[1,0,1]
	v_pk_fma_f32 v[16:17], v[24:25], s[6:7], v[16:17] op_sel_hi:[1,0,1]
	v_pk_add_f32 v[18:19], v[18:19], v[26:27]
	v_mov_b32_e32 v2, v11
	v_pk_add_f32 v[28:29], v[18:19], v[16:17]
	v_pk_add_f32 v[16:17], v[18:19], v[16:17] neg_lo:[0,1] neg_hi:[0,1]
	v_mov_b32_e32 v18, v28
	v_mov_b32_e32 v19, v17
	;; [unrolled: 1-line block ×3, first 2 shown]
	ds_write2_b64 v30, v[0:1], v[18:19] offset1:160
	v_pk_add_f32 v[0:1], v[20:21], v[12:13] neg_lo:[0,1] neg_hi:[0,1]
	s_mov_b32 s2, 0xbf5ff5aa
	v_mov_b32_e32 v12, v22
	v_mov_b32_e32 v13, v9
	v_pk_add_f32 v[2:3], v[2:3], v[14:15] neg_lo:[0,1] neg_hi:[0,1]
	s_mov_b32 s14, 0x3f3bfb3b
	v_mov_b32_e32 v4, v46
	v_mov_b32_e32 v5, v7
	v_mov_b32_e32 v9, v23
	v_mov_b32_e32 v7, v47
	v_pk_fma_f32 v[12:13], v[0:1], s[2:3], v[12:13] op_sel_hi:[1,0,1] neg_lo:[1,0,1] neg_hi:[1,0,1]
	v_pk_fma_f32 v[4:5], v[2:3], s[14:15], v[4:5] op_sel_hi:[1,0,1] neg_lo:[1,0,1] neg_hi:[1,0,1]
	;; [unrolled: 1-line block ×4, first 2 shown]
	v_pk_fma_f32 v[12:13], v[24:25], s[6:7], v[12:13] op_sel_hi:[1,0,1]
	v_pk_add_f32 v[4:5], v[4:5], v[26:27]
	v_pk_fma_f32 v[0:1], v[24:25], s[6:7], v[0:1] op_sel_hi:[1,0,1]
	v_pk_add_f32 v[2:3], v[2:3], v[26:27]
	v_pk_add_f32 v[10:11], v[4:5], v[12:13]
	v_pk_add_f32 v[4:5], v[4:5], v[12:13] neg_lo:[0,1] neg_hi:[0,1]
	v_pk_add_f32 v[6:7], v[2:3], v[0:1] neg_lo:[0,1] neg_hi:[0,1]
	v_pk_add_f32 v[0:1], v[2:3], v[0:1]
	v_mov_b32_e32 v12, v10
	v_mov_b32_e32 v13, v5
	;; [unrolled: 1-line block ×4, first 2 shown]
	v_add_u32_e32 v1, 0x800, v30
	ds_write2_b64 v1, v[12:13], v[2:3] offset0:64 offset1:224
	v_mov_b32_e32 v1, v7
	v_mov_b32_e32 v5, v11
	v_add_u32_e32 v2, 0x1400, v30
	v_mov_b32_e32 v17, v29
	ds_write2_b64 v2, v[0:1], v[4:5] offset1:160
	ds_write_b64 v30, v[16:17] offset:7680
.LBB0_55:
	s_or_b64 exec, exec, s[0:1]
	s_waitcnt lgkmcnt(0)
	s_barrier
	ds_read2_b64 v[0:3], v30 offset1:224
	v_mad_u64_u32 v[10:11], s[0:1], s10, v36, 0
	v_mov_b32_e32 v4, v11
	v_mad_u64_u32 v[4:5], s[0:1], s11, v36, v[4:5]
	v_mov_b32_e32 v11, v4
	s_waitcnt lgkmcnt(0)
	v_mul_f32_e32 v4, v45, v1
	v_fmac_f32_e32 v4, v44, v0
	v_mul_f32_e32 v0, v45, v0
	s_mov_b32 s0, 0x1d41d41d
	v_fma_f32 v0, v44, v1, -v0
	s_mov_b32 s1, 0x3f4d41d4
	v_cvt_f64_f32_e32 v[0:1], v0
	v_cvt_f64_f32_e32 v[4:5], v4
	v_mul_f64 v[0:1], v[0:1], s[0:1]
	v_mul_f64 v[4:5], v[4:5], s[0:1]
	v_cvt_f32_f64_e32 v13, v[0:1]
	v_mad_u64_u32 v[0:1], s[2:3], s8, v34, 0
	v_cvt_f32_f64_e32 v12, v[4:5]
	v_mov_b32_e32 v4, v1
	v_add_u32_e32 v1, 0x1100, v30
	v_mad_u64_u32 v[14:15], s[2:3], s9, v34, v[4:5]
	ds_read2_b64 v[4:7], v1 offset0:16 offset1:240
	v_mov_b32_e32 v8, s12
	v_mov_b32_e32 v9, s13
	;; [unrolled: 1-line block ×3, first 2 shown]
	v_lshl_add_u64 v[8:9], v[10:11], 3, v[8:9]
	v_lshl_add_u64 v[0:1], v[0:1], 3, v[8:9]
	s_waitcnt lgkmcnt(0)
	v_mul_f32_e32 v8, v43, v5
	v_fmac_f32_e32 v8, v42, v4
	v_mul_f32_e32 v4, v43, v4
	v_fma_f32 v4, v42, v5, -v4
	v_cvt_f64_f32_e32 v[8:9], v8
	v_cvt_f64_f32_e32 v[4:5], v4
	v_mul_f64 v[8:9], v[8:9], s[0:1]
	v_mul_f64 v[4:5], v[4:5], s[0:1]
	v_cvt_f32_f64_e32 v8, v[8:9]
	v_cvt_f32_f64_e32 v9, v[4:5]
	v_mul_f32_e32 v4, v41, v3
	v_fmac_f32_e32 v4, v40, v2
	v_mul_f32_e32 v2, v41, v2
	v_fma_f32 v2, v40, v3, -v2
	v_cvt_f64_f32_e32 v[4:5], v4
	v_cvt_f64_f32_e32 v[2:3], v2
	v_mul_f64 v[4:5], v[4:5], s[0:1]
	v_mul_f64 v[2:3], v[2:3], s[0:1]
	v_cvt_f32_f64_e32 v4, v[4:5]
	v_cvt_f32_f64_e32 v5, v[2:3]
	v_mul_f32_e32 v2, v39, v7
	s_mul_i32 s2, s9, 0x230
	s_mul_hi_u32 s3, s8, 0x230
	v_fmac_f32_e32 v2, v38, v6
	s_add_i32 s3, s3, s2
	s_mul_i32 s2, s8, 0x230
	s_mul_hi_u32 s7, s8, 0xfffffeb0
	v_cvt_f64_f32_e32 v[2:3], v2
	s_lshl_b64 s[10:11], s[2:3], 3
	s_mul_i32 s6, s9, 0xfffffeb0
	s_sub_i32 s7, s7, s8
	v_mul_f64 v[2:3], v[2:3], s[0:1]
	global_store_dwordx2 v[0:1], v[12:13], off
	v_lshl_add_u64 v[0:1], v[0:1], 0, s[10:11]
	s_add_i32 s7, s7, s6
	s_mul_i32 s6, s8, 0xfffffeb0
	v_cvt_f32_f64_e32 v2, v[2:3]
	v_mul_f32_e32 v3, v39, v6
	global_store_dwordx2 v[0:1], v[8:9], off
	v_lshl_add_u64 v[0:1], s[6:7], 3, v[0:1]
	v_fma_f32 v3, v38, v7, -v3
	global_store_dwordx2 v[0:1], v[4:5], off
	v_cvt_f64_f32_e32 v[4:5], v3
	v_mul_f64 v[4:5], v[4:5], s[0:1]
	v_cvt_f32_f64_e32 v3, v[4:5]
	v_lshl_add_u64 v[0:1], v[0:1], 0, s[10:11]
	global_store_dwordx2 v[0:1], v[2:3], off
	s_and_b64 exec, exec, s[4:5]
	s_cbranch_execz .LBB0_57
; %bb.56:
	s_movk_i32 s4, 0x1000
	global_load_dwordx2 v[2:3], v[32:33], off offset:3584
	v_add_co_u32_e32 v4, vcc, s4, v32
	ds_read_b64 v[6:7], v30 offset:3584
	ds_read_b64 v[8:9], v30 offset:8064
	v_addc_co_u32_e32 v5, vcc, 0, v33, vcc
	global_load_dwordx2 v[4:5], v[4:5], off offset:3968
	v_lshl_add_u64 v[0:1], s[6:7], 3, v[0:1]
	s_waitcnt vmcnt(1) lgkmcnt(1)
	v_mul_f32_e32 v10, v7, v3
	v_mul_f32_e32 v3, v6, v3
	v_fmac_f32_e32 v10, v6, v2
	v_fma_f32 v6, v2, v7, -v3
	v_cvt_f64_f32_e32 v[2:3], v10
	v_cvt_f64_f32_e32 v[6:7], v6
	v_mul_f64 v[2:3], v[2:3], s[0:1]
	s_waitcnt vmcnt(0) lgkmcnt(0)
	v_mul_f32_e32 v10, v9, v5
	v_mul_f32_e32 v5, v8, v5
	v_mul_f64 v[6:7], v[6:7], s[0:1]
	v_fmac_f32_e32 v10, v8, v4
	v_fma_f32 v8, v4, v9, -v5
	v_cvt_f32_f64_e32 v2, v[2:3]
	v_cvt_f32_f64_e32 v3, v[6:7]
	v_cvt_f64_f32_e32 v[4:5], v10
	v_cvt_f64_f32_e32 v[6:7], v8
	global_store_dwordx2 v[0:1], v[2:3], off
	v_mul_f64 v[2:3], v[4:5], s[0:1]
	v_mul_f64 v[4:5], v[6:7], s[0:1]
	v_cvt_f32_f64_e32 v2, v[2:3]
	v_cvt_f32_f64_e32 v3, v[4:5]
	v_lshl_add_u64 v[0:1], s[2:3], 3, v[0:1]
	global_store_dwordx2 v[0:1], v[2:3], off
.LBB0_57:
	s_endpgm
	.section	.rodata,"a",@progbits
	.p2align	6, 0x0
	.amdhsa_kernel bluestein_single_back_len1120_dim1_sp_op_CI_CI
		.amdhsa_group_segment_fixed_size 8960
		.amdhsa_private_segment_fixed_size 0
		.amdhsa_kernarg_size 104
		.amdhsa_user_sgpr_count 2
		.amdhsa_user_sgpr_dispatch_ptr 0
		.amdhsa_user_sgpr_queue_ptr 0
		.amdhsa_user_sgpr_kernarg_segment_ptr 1
		.amdhsa_user_sgpr_dispatch_id 0
		.amdhsa_user_sgpr_kernarg_preload_length 0
		.amdhsa_user_sgpr_kernarg_preload_offset 0
		.amdhsa_user_sgpr_private_segment_size 0
		.amdhsa_uses_dynamic_stack 0
		.amdhsa_enable_private_segment 0
		.amdhsa_system_sgpr_workgroup_id_x 1
		.amdhsa_system_sgpr_workgroup_id_y 0
		.amdhsa_system_sgpr_workgroup_id_z 0
		.amdhsa_system_sgpr_workgroup_info 0
		.amdhsa_system_vgpr_workitem_id 0
		.amdhsa_next_free_vgpr 108
		.amdhsa_next_free_sgpr 22
		.amdhsa_accum_offset 108
		.amdhsa_reserve_vcc 1
		.amdhsa_float_round_mode_32 0
		.amdhsa_float_round_mode_16_64 0
		.amdhsa_float_denorm_mode_32 3
		.amdhsa_float_denorm_mode_16_64 3
		.amdhsa_dx10_clamp 1
		.amdhsa_ieee_mode 1
		.amdhsa_fp16_overflow 0
		.amdhsa_tg_split 0
		.amdhsa_exception_fp_ieee_invalid_op 0
		.amdhsa_exception_fp_denorm_src 0
		.amdhsa_exception_fp_ieee_div_zero 0
		.amdhsa_exception_fp_ieee_overflow 0
		.amdhsa_exception_fp_ieee_underflow 0
		.amdhsa_exception_fp_ieee_inexact 0
		.amdhsa_exception_int_div_zero 0
	.end_amdhsa_kernel
	.text
.Lfunc_end0:
	.size	bluestein_single_back_len1120_dim1_sp_op_CI_CI, .Lfunc_end0-bluestein_single_back_len1120_dim1_sp_op_CI_CI
                                        ; -- End function
	.section	.AMDGPU.csdata,"",@progbits
; Kernel info:
; codeLenInByte = 7684
; NumSgprs: 28
; NumVgprs: 108
; NumAgprs: 0
; TotalNumVgprs: 108
; ScratchSize: 0
; MemoryBound: 0
; FloatMode: 240
; IeeeMode: 1
; LDSByteSize: 8960 bytes/workgroup (compile time only)
; SGPRBlocks: 3
; VGPRBlocks: 13
; NumSGPRsForWavesPerEU: 28
; NumVGPRsForWavesPerEU: 108
; AccumOffset: 108
; Occupancy: 4
; WaveLimiterHint : 1
; COMPUTE_PGM_RSRC2:SCRATCH_EN: 0
; COMPUTE_PGM_RSRC2:USER_SGPR: 2
; COMPUTE_PGM_RSRC2:TRAP_HANDLER: 0
; COMPUTE_PGM_RSRC2:TGID_X_EN: 1
; COMPUTE_PGM_RSRC2:TGID_Y_EN: 0
; COMPUTE_PGM_RSRC2:TGID_Z_EN: 0
; COMPUTE_PGM_RSRC2:TIDIG_COMP_CNT: 0
; COMPUTE_PGM_RSRC3_GFX90A:ACCUM_OFFSET: 26
; COMPUTE_PGM_RSRC3_GFX90A:TG_SPLIT: 0
	.text
	.p2alignl 6, 3212836864
	.fill 256, 4, 3212836864
	.type	__hip_cuid_9df874556014046,@object ; @__hip_cuid_9df874556014046
	.section	.bss,"aw",@nobits
	.globl	__hip_cuid_9df874556014046
__hip_cuid_9df874556014046:
	.byte	0                               ; 0x0
	.size	__hip_cuid_9df874556014046, 1

	.ident	"AMD clang version 19.0.0git (https://github.com/RadeonOpenCompute/llvm-project roc-6.4.0 25133 c7fe45cf4b819c5991fe208aaa96edf142730f1d)"
	.section	".note.GNU-stack","",@progbits
	.addrsig
	.addrsig_sym __hip_cuid_9df874556014046
	.amdgpu_metadata
---
amdhsa.kernels:
  - .agpr_count:     0
    .args:
      - .actual_access:  read_only
        .address_space:  global
        .offset:         0
        .size:           8
        .value_kind:     global_buffer
      - .actual_access:  read_only
        .address_space:  global
        .offset:         8
        .size:           8
        .value_kind:     global_buffer
      - .actual_access:  read_only
        .address_space:  global
        .offset:         16
        .size:           8
        .value_kind:     global_buffer
      - .actual_access:  read_only
        .address_space:  global
        .offset:         24
        .size:           8
        .value_kind:     global_buffer
      - .actual_access:  read_only
        .address_space:  global
        .offset:         32
        .size:           8
        .value_kind:     global_buffer
      - .offset:         40
        .size:           8
        .value_kind:     by_value
      - .address_space:  global
        .offset:         48
        .size:           8
        .value_kind:     global_buffer
      - .address_space:  global
        .offset:         56
        .size:           8
        .value_kind:     global_buffer
      - .address_space:  global
        .offset:         64
        .size:           8
        .value_kind:     global_buffer
      - .address_space:  global
        .offset:         72
        .size:           8
        .value_kind:     global_buffer
      - .offset:         80
        .size:           4
        .value_kind:     by_value
      - .address_space:  global
        .offset:         88
        .size:           8
        .value_kind:     global_buffer
      - .address_space:  global
        .offset:         96
        .size:           8
        .value_kind:     global_buffer
    .group_segment_fixed_size: 8960
    .kernarg_segment_align: 8
    .kernarg_segment_size: 104
    .language:       OpenCL C
    .language_version:
      - 2
      - 0
    .max_flat_workgroup_size: 224
    .name:           bluestein_single_back_len1120_dim1_sp_op_CI_CI
    .private_segment_fixed_size: 0
    .sgpr_count:     28
    .sgpr_spill_count: 0
    .symbol:         bluestein_single_back_len1120_dim1_sp_op_CI_CI.kd
    .uniform_work_group_size: 1
    .uses_dynamic_stack: false
    .vgpr_count:     108
    .vgpr_spill_count: 0
    .wavefront_size: 64
amdhsa.target:   amdgcn-amd-amdhsa--gfx950
amdhsa.version:
  - 1
  - 2
...

	.end_amdgpu_metadata
